;; amdgpu-corpus repo=zjin-lcf/HeCBench kind=compiled arch=gfx1100 opt=O3
	.text
	.amdgcn_target "amdgcn-amd-amdhsa--gfx1100"
	.amdhsa_code_object_version 6
	.protected	_Z3spmPKfiPKhS2_15HIP_vector_typeIiLj3EES4_PhS5_Pb ; -- Begin function _Z3spmPKfiPKhS2_15HIP_vector_typeIiLj3EES4_PhS5_Pb
	.globl	_Z3spmPKfiPKhS2_15HIP_vector_typeIiLj3EES4_PhS5_Pb
	.p2align	8
	.type	_Z3spmPKfiPKhS2_15HIP_vector_typeIiLj3EES4_PhS5_Pb,@function
_Z3spmPKfiPKhS2_15HIP_vector_typeIiLj3EES4_PhS5_Pb: ; @_Z3spmPKfiPKhS2_15HIP_vector_typeIiLj3EES4_PhS5_Pb
; %bb.0:
	s_load_b32 s24, s[0:1], 0x8
	v_lshl_add_u32 v0, s15, 7, v0
	s_mov_b32 s2, exec_lo
	s_waitcnt lgkmcnt(0)
	s_delay_alu instid0(VALU_DEP_1)
	v_cmpx_gt_i32_e64 s24, v0
	s_cbranch_execz .LBB0_11
; %bb.1:
	s_clause 0x6
	s_load_b64 s[2:3], s[0:1], 0x20
	s_load_b64 s[12:13], s[0:1], 0x2c
	s_load_b32 s33, s[0:1], 0x34
	s_load_b64 s[30:31], s[0:1], 0x0
	s_load_b64 s[14:15], s[0:1], 0x48
	s_load_b128 s[4:7], s[0:1], 0x38
	s_load_b128 s[8:11], s[0:1], 0x10
	s_mov_b32 s40, 0
	s_waitcnt lgkmcnt(0)
	s_clause 0x3
	s_load_b64 s[16:17], s[30:31], 0x0
	s_load_b32 s27, s[30:31], 0x8
	s_load_b64 s[18:19], s[30:31], 0x10
	s_load_b32 s28, s[30:31], 0x18
	s_add_i32 s37, s2, -2
	s_add_i32 s38, s3, -2
	s_abs_i32 s25, s37
	s_abs_i32 s26, s38
	v_cvt_f32_u32_e32 v1, s25
	v_cvt_f32_u32_e32 v2, s26
	s_sub_i32 s0, 0, s25
	s_sub_i32 s1, 0, s26
	s_clause 0x3
	s_load_b64 s[20:21], s[30:31], 0x20
	s_load_b32 s29, s[30:31], 0x28
	s_load_b64 s[22:23], s[30:31], 0x30
	s_load_b32 s30, s[30:31], 0x38
	v_rcp_iflag_f32_e32 v1, v1
	v_rcp_iflag_f32_e32 v2, v2
	v_cvt_f32_i32_e32 v4, s33
	v_cvt_f32_i32_e32 v5, s13
	;; [unrolled: 1-line block ×4, first 2 shown]
	s_mul_i32 s34, s13, s12
	s_mul_i32 s36, s3, s2
	s_ashr_i32 s31, s12, 31
	s_mov_b32 s33, s12
	s_waitcnt_depctr 0xfff
	v_dual_mul_f32 v1, 0x4f7ffffe, v1 :: v_dual_mul_f32 v2, 0x4f7ffffe, v2
	s_ashr_i32 s35, s2, 31
	s_mov_b32 s38, s2
	s_ashr_i32 s39, s36, 31
	s_delay_alu instid0(VALU_DEP_1) | instskip(SKIP_1) | instid1(VALU_DEP_2)
	v_cvt_u32_f32_e32 v1, v1
	v_cvt_u32_f32_e32 v2, v2
	v_mul_lo_u32 v3, s0, v1
	s_delay_alu instid0(VALU_DEP_2) | instskip(NEXT) | instid1(VALU_DEP_2)
	v_mul_lo_u32 v7, s1, v2
	v_mul_hi_u32 v3, v1, v3
	s_delay_alu instid0(VALU_DEP_2) | instskip(SKIP_2) | instid1(VALU_DEP_3)
	v_mul_hi_u32 v10, v2, v7
	v_cvt_f32_i32_e32 v7, s37
	s_ashr_i32 s37, s34, 31
	v_add_nc_u32_e32 v9, v1, v3
	s_delay_alu instid0(VALU_DEP_3)
	v_add_nc_u32_e32 v10, v2, v10
	v_ashrrev_i32_e32 v1, 31, v0
	s_branch .LBB0_3
.LBB0_2:                                ;   in Loop: Header=BB0_3 Depth=1
	s_or_b32 exec_lo, exec_lo, s0
	v_add_co_u32 v0, vcc_lo, 0x8000, v0
	v_add_co_u32 v12, s0, s6, v2
	v_add_co_ci_u32_e32 v1, vcc_lo, 0, v1, vcc_lo
	v_add_co_ci_u32_e64 v13, s0, s7, v3, s0
	s_delay_alu instid0(VALU_DEP_4) | instskip(SKIP_1) | instid1(VALU_DEP_1)
	v_cmp_le_i32_e32 vcc_lo, s24, v0
	v_add_co_u32 v2, s0, s14, v2
	v_add_co_ci_u32_e64 v3, s0, s15, v3, s0
	s_or_b32 s40, vcc_lo, s40
	global_store_b8 v[12:13], v16, off
	global_store_b8 v[2:3], v11, off
	s_and_not1_b32 exec_lo, exec_lo, s40
	s_cbranch_execz .LBB0_11
.LBB0_3:                                ; =>This Inner Loop Header: Depth=1
	v_mul_hi_i32 v2, 0x151d07eb, v0
	s_getpc_b64 s[0:1]
	s_add_u32 s0, s0, __const._Z3spmPKfiPKhS2_15HIP_vector_typeIiLj3EES4_PhS5_Pb.ran@rel32@lo+4
	s_addc_u32 s1, s1, __const._Z3spmPKfiPKhS2_15HIP_vector_typeIiLj3EES4_PhS5_Pb.ran@rel32@hi+12
	s_mov_b32 s42, exec_lo
	s_delay_alu instid0(VALU_DEP_1) | instskip(SKIP_1) | instid1(VALU_DEP_1)
	v_lshrrev_b32_e32 v3, 31, v2
	v_ashrrev_i32_e32 v2, 3, v2
	v_add_nc_u32_e32 v2, v2, v3
	s_delay_alu instid0(VALU_DEP_1) | instskip(NEXT) | instid1(VALU_DEP_1)
	v_mul_lo_u32 v2, 0x61, v2
	v_sub_nc_u32_e32 v2, v0, v2
	s_delay_alu instid0(VALU_DEP_1) | instskip(NEXT) | instid1(VALU_DEP_1)
	v_ashrrev_i32_e32 v3, 31, v2
	v_lshlrev_b64 v[2:3], 2, v[2:3]
	s_delay_alu instid0(VALU_DEP_1) | instskip(NEXT) | instid1(VALU_DEP_2)
	v_add_co_u32 v2, vcc_lo, v2, s0
	v_add_co_ci_u32_e32 v3, vcc_lo, s1, v3, vcc_lo
                                        ; implicit-def: $sgpr1
	global_load_b32 v12, v[2:3], off
	v_cvt_f32_i32_e32 v2, v0
	s_delay_alu instid0(VALU_DEP_1) | instskip(SKIP_1) | instid1(VALU_DEP_2)
	v_div_scale_f32 v3, null, v7, v7, v2
	v_div_scale_f32 v14, vcc_lo, v2, v7, v2
	v_rcp_f32_e32 v11, v3
	s_waitcnt_depctr 0xfff
	v_fma_f32 v13, -v3, v11, 1.0
	s_delay_alu instid0(VALU_DEP_1) | instskip(NEXT) | instid1(VALU_DEP_1)
	v_fmac_f32_e32 v11, v13, v11
	v_mul_f32_e32 v13, v14, v11
	s_delay_alu instid0(VALU_DEP_1) | instskip(NEXT) | instid1(VALU_DEP_1)
	v_fma_f32 v15, -v3, v13, v14
	v_fmac_f32_e32 v13, v15, v11
	s_delay_alu instid0(VALU_DEP_1) | instskip(NEXT) | instid1(VALU_DEP_1)
	v_fma_f32 v3, -v3, v13, v14
	v_div_fmas_f32 v3, v3, v11, v13
	v_sub_nc_u32_e32 v11, 0, v0
	s_delay_alu instid0(VALU_DEP_2) | instskip(NEXT) | instid1(VALU_DEP_2)
	v_div_fixup_f32 v2, v3, v7, v2
	v_max_i32_e32 v11, v0, v11
	s_delay_alu instid0(VALU_DEP_2) | instskip(NEXT) | instid1(VALU_DEP_2)
	v_floor_f32_e32 v2, v2
	v_mul_hi_u32 v14, v11, v9
	s_delay_alu instid0(VALU_DEP_2) | instskip(SKIP_1) | instid1(VALU_DEP_3)
	v_cvt_i32_f32_e32 v3, v2
	v_div_scale_f32 v16, null, v8, v8, v2
	v_mul_lo_u32 v14, v14, s25
	s_delay_alu instid0(VALU_DEP_3) | instskip(SKIP_1) | instid1(VALU_DEP_2)
	v_sub_nc_u32_e32 v13, 0, v3
	v_ashrrev_i32_e32 v20, 31, v3
	v_max_i32_e32 v13, v3, v13
	v_ashrrev_i32_e32 v3, 31, v0
	v_sub_nc_u32_e32 v11, v11, v14
	v_rcp_f32_e32 v14, v16
	s_delay_alu instid0(VALU_DEP_3) | instskip(NEXT) | instid1(VALU_DEP_2)
	v_mul_hi_u32 v15, v13, v10
	v_cmp_le_u32_e32 vcc_lo, s25, v11
	s_delay_alu instid0(VALU_DEP_2) | instskip(NEXT) | instid1(VALU_DEP_1)
	v_mul_lo_u32 v15, v15, s26
	v_sub_nc_u32_e32 v13, v13, v15
	v_subrev_nc_u32_e32 v15, s25, v11
	s_delay_alu instid0(VALU_DEP_2) | instskip(NEXT) | instid1(VALU_DEP_2)
	v_subrev_nc_u32_e32 v17, s26, v13
	v_cndmask_b32_e32 v11, v11, v15, vcc_lo
	v_cmp_le_u32_e32 vcc_lo, s26, v13
	s_delay_alu instid0(TRANS32_DEP_1) | instskip(NEXT) | instid1(VALU_DEP_4)
	v_fma_f32 v15, -v16, v14, 1.0
	v_cndmask_b32_e32 v13, v13, v17, vcc_lo
	v_div_scale_f32 v17, vcc_lo, v2, v8, v2
	s_delay_alu instid0(VALU_DEP_3) | instskip(NEXT) | instid1(VALU_DEP_3)
	v_fmac_f32_e32 v14, v15, v14
	v_subrev_nc_u32_e32 v15, s26, v13
	v_cmp_le_u32_e64 s0, s26, v13
	s_delay_alu instid0(VALU_DEP_3) | instskip(NEXT) | instid1(VALU_DEP_2)
	v_mul_f32_e32 v19, v17, v14
	v_cndmask_b32_e64 v13, v13, v15, s0
	s_delay_alu instid0(VALU_DEP_2) | instskip(NEXT) | instid1(VALU_DEP_2)
	v_fma_f32 v15, -v16, v19, v17
	v_xor_b32_e32 v13, v13, v20
	s_delay_alu instid0(VALU_DEP_2) | instskip(NEXT) | instid1(VALU_DEP_2)
	v_fmac_f32_e32 v19, v15, v14
	v_sub_nc_u32_e32 v13, v13, v20
	s_delay_alu instid0(VALU_DEP_2) | instskip(NEXT) | instid1(VALU_DEP_2)
	v_fma_f32 v15, -v16, v19, v17
                                        ; implicit-def: $vgpr16
	v_cvt_f32_i32_e32 v13, v13
	s_delay_alu instid0(VALU_DEP_2) | instskip(NEXT) | instid1(VALU_DEP_2)
	v_div_fmas_f32 v14, v15, v14, v19
	v_add_f32_e32 v13, 1.0, v13
	s_delay_alu instid0(VALU_DEP_2) | instskip(SKIP_1) | instid1(VALU_DEP_2)
	v_div_fixup_f32 v14, v14, v8, v2
	s_waitcnt vmcnt(0)
	v_add_f32_e32 v2, v12, v13
	v_subrev_nc_u32_e32 v18, s25, v11
	v_cmp_le_u32_e64 s0, s25, v11
	v_add_f32_e32 v13, 1.0, v14
	s_waitcnt lgkmcnt(0)
	v_mul_f32_e32 v14, s28, v2
	s_delay_alu instid0(VALU_DEP_3) | instskip(NEXT) | instid1(VALU_DEP_1)
	v_cndmask_b32_e64 v11, v11, v18, s0
	v_xor_b32_e32 v11, v11, v3
	s_delay_alu instid0(VALU_DEP_1) | instskip(NEXT) | instid1(VALU_DEP_1)
	v_sub_nc_u32_e32 v11, v11, v3
	v_cvt_f32_i32_e32 v11, v11
	s_delay_alu instid0(VALU_DEP_1) | instskip(NEXT) | instid1(VALU_DEP_1)
	v_add_f32_e32 v11, 1.0, v11
	v_add_f32_e32 v11, v11, v12
	v_add_f32_e32 v12, v13, v12
	s_delay_alu instid0(VALU_DEP_2) | instskip(NEXT) | instid1(VALU_DEP_1)
	v_fmac_f32_e32 v14, s27, v11
	v_fmac_f32_e32 v14, s29, v12
	s_delay_alu instid0(VALU_DEP_1) | instskip(NEXT) | instid1(VALU_DEP_1)
	v_add_f32_e32 v13, s30, v14
	v_cmp_nle_f32_e64 s41, 1.0, v13
	v_cmpx_le_f32_e32 1.0, v13
	s_cbranch_execz .LBB0_9
; %bb.4:                                ;   in Loop: Header=BB0_3 Depth=1
	v_mul_f32_e32 v14, s19, v2
	v_cmp_lt_f32_e32 vcc_lo, v13, v4
                                        ; implicit-def: $sgpr1
                                        ; implicit-def: $vgpr16
	s_delay_alu instid0(VALU_DEP_2) | instskip(NEXT) | instid1(VALU_DEP_1)
	v_fmac_f32_e32 v14, s17, v11
	v_fmac_f32_e32 v14, s21, v12
	s_delay_alu instid0(VALU_DEP_1) | instskip(NEXT) | instid1(VALU_DEP_1)
	v_add_f32_e32 v14, s23, v14
	v_cmp_le_f32_e64 s0, 1.0, v14
	s_delay_alu instid0(VALU_DEP_1) | instskip(NEXT) | instid1(SALU_CYCLE_1)
	s_and_b32 s0, vcc_lo, s0
	s_xor_b32 s43, s0, -1
	s_and_saveexec_b32 s44, s0
	s_cbranch_execz .LBB0_8
; %bb.5:                                ;   in Loop: Header=BB0_3 Depth=1
	v_mul_f32_e32 v15, s18, v2
	v_cmp_lt_f32_e32 vcc_lo, v14, v5
	s_mov_b32 s45, -1
                                        ; implicit-def: $vgpr16
	s_delay_alu instid0(VALU_DEP_2) | instskip(NEXT) | instid1(VALU_DEP_1)
	v_fmac_f32_e32 v15, s16, v11
	v_fmac_f32_e32 v15, s20, v12
	s_delay_alu instid0(VALU_DEP_1) | instskip(NEXT) | instid1(VALU_DEP_1)
	v_add_f32_e32 v15, s22, v15
	v_cmp_lt_f32_e64 s0, v15, v6
	v_cmp_le_f32_e64 s1, 1.0, v15
	s_delay_alu instid0(VALU_DEP_2)
	s_and_b32 s0, vcc_lo, s0
	s_delay_alu instid0(VALU_DEP_1) | instid1(SALU_CYCLE_1)
	s_and_b32 s46, s0, s1
                                        ; implicit-def: $sgpr1
	s_delay_alu instid0(SALU_CYCLE_1)
	s_and_saveexec_b32 s0, s46
	s_cbranch_execz .LBB0_7
; %bb.6:                                ;   in Loop: Header=BB0_3 Depth=1
	v_floor_f32_e32 v16, v13
	v_floor_f32_e32 v17, v12
	;; [unrolled: 1-line block ×5, first 2 shown]
	v_cvt_i32_f32_e32 v24, v16
	v_cvt_i32_f32_e32 v25, v17
	;; [unrolled: 1-line block ×4, first 2 shown]
	v_floor_f32_e32 v21, v11
	v_add_nc_u32_e32 v16, -1, v24
	v_add_nc_u32_e32 v17, -1, v25
	v_cvt_i32_f32_e32 v28, v18
	v_cvt_f32_i32_e32 v25, v25
	v_cvt_i32_f32_e32 v29, v21
	v_mul_lo_u32 v16, v16, s13
	v_mul_lo_u32 v17, v17, s3
	v_ashrrev_i32_e32 v18, 31, v28
	s_mov_b32 s1, 1
	v_ashrrev_i32_e32 v19, 31, v29
	s_xor_b32 s45, exec_lo, -1
	v_sub_f32_e32 v12, v12, v25
	v_add3_u32 v16, v26, v16, -1
	v_add3_u32 v17, v27, v17, -1
	s_delay_alu instid0(VALU_DEP_2) | instskip(NEXT) | instid1(VALU_DEP_2)
	v_mul_lo_u32 v16, v16, s12
	v_mul_lo_u32 v20, v17, s2
	v_add_co_u32 v17, vcc_lo, s10, v28
	v_add_co_ci_u32_e32 v18, vcc_lo, s11, v18, vcc_lo
	v_add_co_u32 v21, vcc_lo, s8, v29
	v_ashrrev_i32_e32 v22, 31, v16
	v_add_co_ci_u32_e32 v19, vcc_lo, s9, v19, vcc_lo
	v_ashrrev_i32_e32 v23, 31, v20
	v_add_co_u32 v16, vcc_lo, v17, v16
	s_delay_alu instid0(VALU_DEP_4) | instskip(SKIP_1) | instid1(VALU_DEP_4)
	v_add_co_ci_u32_e32 v17, vcc_lo, v18, v22, vcc_lo
	v_add_co_u32 v18, vcc_lo, v21, v20
	v_add_co_ci_u32_e32 v19, vcc_lo, v19, v23, vcc_lo
	s_delay_alu instid0(VALU_DEP_4) | instskip(NEXT) | instid1(VALU_DEP_4)
	v_add_co_u32 v20, vcc_lo, v16, s33
	v_add_co_ci_u32_e32 v21, vcc_lo, s31, v17, vcc_lo
	v_add_co_u32 v22, vcc_lo, v16, s34
	v_add_co_ci_u32_e32 v23, vcc_lo, s37, v17, vcc_lo
	global_load_u16 v30, v[18:19], off offset:-1
	s_clause 0x1
	global_load_u16 v31, v[16:17], off offset:-1
	global_load_u16 v32, v[20:21], off offset:-1
	v_add_co_u32 v16, vcc_lo, v18, s38
	v_add_co_ci_u32_e32 v17, vcc_lo, s35, v19, vcc_lo
	v_add_co_u32 v18, vcc_lo, v18, s36
	v_add_co_ci_u32_e32 v19, vcc_lo, s39, v19, vcc_lo
	;; [unrolled: 2-line block ×3, first 2 shown]
	global_load_u16 v22, v[22:23], off offset:-1
	s_clause 0x1
	global_load_u16 v23, v[16:17], off offset:-1
	global_load_u16 v33, v[18:19], off offset:-1
	v_add_co_u32 v16, vcc_lo, v18, s38
	v_add_co_ci_u32_e32 v17, vcc_lo, s35, v19, vcc_lo
	global_load_u16 v18, v[20:21], off offset:-1
	global_load_u16 v16, v[16:17], off offset:-1
	v_cvt_f32_i32_e32 v17, v28
	v_cvt_f32_i32_e32 v19, v26
	;; [unrolled: 1-line block ×5, first 2 shown]
	s_delay_alu instid0(VALU_DEP_4) | instskip(NEXT) | instid1(VALU_DEP_4)
	v_dual_sub_f32 v15, v15, v17 :: v_dual_sub_f32 v14, v14, v19
	v_sub_f32_e32 v13, v13, v20
	s_delay_alu instid0(VALU_DEP_3) | instskip(NEXT) | instid1(VALU_DEP_2)
	v_dual_sub_f32 v11, v11, v21 :: v_dual_sub_f32 v2, v2, v24
	v_dual_sub_f32 v17, 1.0, v15 :: v_dual_sub_f32 v20, 1.0, v13
	s_waitcnt vmcnt(7)
	v_cvt_f32_ubyte0_e32 v27, v30
	s_waitcnt vmcnt(6)
	v_cvt_f32_ubyte1_e32 v24, v31
	v_sub_f32_e32 v19, 1.0, v14
	v_cvt_f32_ubyte0_e32 v26, v31
	v_cvt_f32_ubyte1_e32 v28, v30
	s_waitcnt vmcnt(5)
	v_cvt_f32_ubyte1_e32 v30, v32
	v_mul_f32_e32 v24, v15, v24
	v_cvt_f32_ubyte0_e32 v29, v32
	v_dual_sub_f32 v21, 1.0, v11 :: v_dual_mul_f32 v28, v11, v28
	s_waitcnt vmcnt(4)
	v_cvt_f32_ubyte0_e32 v31, v22
	v_cvt_f32_ubyte1_e32 v22, v22
	s_waitcnt vmcnt(3)
	v_cvt_f32_ubyte0_e32 v32, v23
	v_cvt_f32_ubyte1_e32 v23, v23
	v_sub_f32_e32 v25, 1.0, v2
	s_waitcnt vmcnt(2)
	v_cvt_f32_ubyte0_e32 v34, v33
	v_cvt_f32_ubyte1_e32 v33, v33
	v_fmac_f32_e32 v28, v21, v27
	s_waitcnt vmcnt(1)
	v_cvt_f32_ubyte1_e32 v35, v18
	v_fmac_f32_e32 v24, v17, v26
	v_mul_f32_e32 v26, v15, v30
	v_cvt_f32_ubyte0_e32 v18, v18
	s_waitcnt vmcnt(0)
	v_cvt_f32_ubyte1_e32 v30, v16
	v_mul_f32_e32 v35, v15, v35
	v_mul_f32_e32 v15, v15, v22
	v_mul_f32_e32 v22, v11, v23
	v_cvt_f32_ubyte0_e32 v16, v16
	s_delay_alu instid0(VALU_DEP_3) | instskip(SKIP_4) | instid1(VALU_DEP_2)
	v_fmac_f32_e32 v15, v17, v31
	v_fmac_f32_e32 v26, v17, v29
	;; [unrolled: 1-line block ×3, first 2 shown]
	v_mul_f32_e32 v23, v11, v30
	v_dual_mul_f32 v11, v11, v33 :: v_dual_fmac_f32 v22, v21, v32
	v_dual_fmac_f32 v23, v21, v16 :: v_dual_mul_f32 v16, v14, v35
	v_mul_f32_e32 v14, v14, v26
	s_delay_alu instid0(VALU_DEP_3) | instskip(NEXT) | instid1(VALU_DEP_3)
	v_fmac_f32_e32 v11, v21, v34
	v_mul_f32_e32 v17, v2, v23
	s_delay_alu instid0(VALU_DEP_4) | instskip(NEXT) | instid1(VALU_DEP_4)
	v_fmac_f32_e32 v16, v19, v15
	v_fmac_f32_e32 v14, v19, v24
	v_mul_f32_e32 v2, v2, v22
	s_delay_alu instid0(VALU_DEP_1) | instskip(SKIP_2) | instid1(VALU_DEP_2)
	v_fmac_f32_e32 v2, v25, v28
	v_fmac_f32_e32 v17, v25, v11
	v_mul_f32_e32 v11, v13, v16
	v_dual_sub_f32 v13, 1.0, v12 :: v_dual_mul_f32 v12, v12, v17
	s_delay_alu instid0(VALU_DEP_2) | instskip(NEXT) | instid1(VALU_DEP_2)
	v_fmac_f32_e32 v11, v20, v14
	v_fmac_f32_e32 v12, v13, v2
	s_delay_alu instid0(VALU_DEP_1) | instskip(NEXT) | instid1(VALU_DEP_1)
	v_dual_add_f32 v2, 0.5, v11 :: v_dual_add_f32 v11, 0.5, v12
	v_floor_f32_e32 v12, v2
	v_mov_b32_e32 v2, v0
	s_delay_alu instid0(VALU_DEP_3) | instskip(SKIP_1) | instid1(VALU_DEP_4)
	v_floor_f32_e32 v13, v11
	v_add_co_u32 v11, vcc_lo, s4, v0
	v_cvt_i32_f32_e32 v14, v12
	v_add_co_ci_u32_e32 v12, vcc_lo, s5, v1, vcc_lo
	s_delay_alu instid0(VALU_DEP_4)
	v_cvt_i32_f32_e32 v16, v13
	global_store_b8 v[11:12], v14, off
.LBB0_7:                                ;   in Loop: Header=BB0_3 Depth=1
	s_or_b32 exec_lo, exec_lo, s0
	s_delay_alu instid0(SALU_CYCLE_1) | instskip(SKIP_1) | instid1(SALU_CYCLE_1)
	s_and_not1_b32 s0, s43, exec_lo
	s_and_b32 s43, s45, exec_lo
	s_or_b32 s43, s0, s43
.LBB0_8:                                ;   in Loop: Header=BB0_3 Depth=1
	s_or_b32 exec_lo, exec_lo, s44
	s_delay_alu instid0(SALU_CYCLE_1) | instskip(SKIP_1) | instid1(SALU_CYCLE_1)
	s_and_not1_b32 s0, s41, exec_lo
	s_and_b32 s41, s43, exec_lo
	s_or_b32 s41, s0, s41
.LBB0_9:                                ;   in Loop: Header=BB0_3 Depth=1
	s_or_b32 exec_lo, exec_lo, s42
	v_mov_b32_e32 v11, s1
	s_and_saveexec_b32 s0, s41
	s_cbranch_execz .LBB0_2
; %bb.10:                               ;   in Loop: Header=BB0_3 Depth=1
	v_add_co_u32 v12, vcc_lo, s4, v0
	v_dual_mov_b32 v16, 0 :: v_dual_mov_b32 v3, v1
	v_add_co_ci_u32_e32 v13, vcc_lo, s5, v1, vcc_lo
	v_dual_mov_b32 v2, v0 :: v_dual_mov_b32 v11, 0
	global_store_b8 v[12:13], v16, off
	s_branch .LBB0_2
.LBB0_11:
	s_nop 0
	s_sendmsg sendmsg(MSG_DEALLOC_VGPRS)
	s_endpgm
	.section	.rodata,"a",@progbits
	.p2align	6, 0x0
	.amdhsa_kernel _Z3spmPKfiPKhS2_15HIP_vector_typeIiLj3EES4_PhS5_Pb
		.amdhsa_group_segment_fixed_size 0
		.amdhsa_private_segment_fixed_size 0
		.amdhsa_kernarg_size 80
		.amdhsa_user_sgpr_count 15
		.amdhsa_user_sgpr_dispatch_ptr 0
		.amdhsa_user_sgpr_queue_ptr 0
		.amdhsa_user_sgpr_kernarg_segment_ptr 1
		.amdhsa_user_sgpr_dispatch_id 0
		.amdhsa_user_sgpr_private_segment_size 0
		.amdhsa_wavefront_size32 1
		.amdhsa_uses_dynamic_stack 0
		.amdhsa_enable_private_segment 0
		.amdhsa_system_sgpr_workgroup_id_x 1
		.amdhsa_system_sgpr_workgroup_id_y 0
		.amdhsa_system_sgpr_workgroup_id_z 0
		.amdhsa_system_sgpr_workgroup_info 0
		.amdhsa_system_vgpr_workitem_id 0
		.amdhsa_next_free_vgpr 36
		.amdhsa_next_free_sgpr 47
		.amdhsa_reserve_vcc 1
		.amdhsa_float_round_mode_32 0
		.amdhsa_float_round_mode_16_64 0
		.amdhsa_float_denorm_mode_32 3
		.amdhsa_float_denorm_mode_16_64 3
		.amdhsa_dx10_clamp 1
		.amdhsa_ieee_mode 1
		.amdhsa_fp16_overflow 0
		.amdhsa_workgroup_processor_mode 1
		.amdhsa_memory_ordered 1
		.amdhsa_forward_progress 0
		.amdhsa_shared_vgpr_count 0
		.amdhsa_exception_fp_ieee_invalid_op 0
		.amdhsa_exception_fp_denorm_src 0
		.amdhsa_exception_fp_ieee_div_zero 0
		.amdhsa_exception_fp_ieee_overflow 0
		.amdhsa_exception_fp_ieee_underflow 0
		.amdhsa_exception_fp_ieee_inexact 0
		.amdhsa_exception_int_div_zero 0
	.end_amdhsa_kernel
	.text
.Lfunc_end0:
	.size	_Z3spmPKfiPKhS2_15HIP_vector_typeIiLj3EES4_PhS5_Pb, .Lfunc_end0-_Z3spmPKfiPKhS2_15HIP_vector_typeIiLj3EES4_PhS5_Pb
                                        ; -- End function
	.section	.AMDGPU.csdata,"",@progbits
; Kernel info:
; codeLenInByte = 1972
; NumSgprs: 49
; NumVgprs: 36
; ScratchSize: 0
; MemoryBound: 0
; FloatMode: 240
; IeeeMode: 1
; LDSByteSize: 0 bytes/workgroup (compile time only)
; SGPRBlocks: 6
; VGPRBlocks: 4
; NumSGPRsForWavesPerEU: 49
; NumVGPRsForWavesPerEU: 36
; Occupancy: 16
; WaveLimiterHint : 0
; COMPUTE_PGM_RSRC2:SCRATCH_EN: 0
; COMPUTE_PGM_RSRC2:USER_SGPR: 15
; COMPUTE_PGM_RSRC2:TRAP_HANDLER: 0
; COMPUTE_PGM_RSRC2:TGID_X_EN: 1
; COMPUTE_PGM_RSRC2:TGID_Y_EN: 0
; COMPUTE_PGM_RSRC2:TGID_Z_EN: 0
; COMPUTE_PGM_RSRC2:TIDIG_COMP_CNT: 0
	.text
	.p2alignl 7, 3214868480
	.fill 96, 4, 3214868480
	.type	__const._Z3spmPKfiPKhS2_15HIP_vector_typeIiLj3EES4_PhS5_Pb.ran,@object ; @__const._Z3spmPKfiPKhS2_15HIP_vector_typeIiLj3EES4_PhS5_Pb.ran
	.section	.rodata,"a",@progbits
	.p2align	4, 0x0
__const._Z3spmPKfiPKhS2_15HIP_vector_typeIiLj3EES4_PhS5_Pb.ran:
	.long	0x3f28182f                      ; float 0.656619012
	.long	0x3f642492                      ; float 0.891183018
	;; [unrolled: 1-line block ×97, first 2 shown]
	.size	__const._Z3spmPKfiPKhS2_15HIP_vector_typeIiLj3EES4_PhS5_Pb.ran, 388

	.type	__hip_cuid_cc68e12e511ad526,@object ; @__hip_cuid_cc68e12e511ad526
	.section	.bss,"aw",@nobits
	.globl	__hip_cuid_cc68e12e511ad526
__hip_cuid_cc68e12e511ad526:
	.byte	0                               ; 0x0
	.size	__hip_cuid_cc68e12e511ad526, 1

	.ident	"AMD clang version 19.0.0git (https://github.com/RadeonOpenCompute/llvm-project roc-6.4.0 25133 c7fe45cf4b819c5991fe208aaa96edf142730f1d)"
	.section	".note.GNU-stack","",@progbits
	.addrsig
	.addrsig_sym __hip_cuid_cc68e12e511ad526
	.amdgpu_metadata
---
amdhsa.kernels:
  - .args:
      - .actual_access:  read_only
        .address_space:  global
        .offset:         0
        .size:           8
        .value_kind:     global_buffer
      - .offset:         8
        .size:           4
        .value_kind:     by_value
      - .actual_access:  read_only
        .address_space:  global
        .offset:         16
        .size:           8
        .value_kind:     global_buffer
      - .actual_access:  read_only
        .address_space:  global
        .offset:         24
        .size:           8
        .value_kind:     global_buffer
      - .offset:         32
        .size:           12
        .value_kind:     by_value
      - .offset:         44
        .size:           12
        .value_kind:     by_value
      - .actual_access:  write_only
        .address_space:  global
        .offset:         56
        .size:           8
        .value_kind:     global_buffer
      - .actual_access:  write_only
        .address_space:  global
        .offset:         64
        .size:           8
        .value_kind:     global_buffer
      - .actual_access:  write_only
        .address_space:  global
        .offset:         72
        .size:           8
        .value_kind:     global_buffer
    .group_segment_fixed_size: 0
    .kernarg_segment_align: 8
    .kernarg_segment_size: 80
    .language:       OpenCL C
    .language_version:
      - 2
      - 0
    .max_flat_workgroup_size: 1024
    .name:           _Z3spmPKfiPKhS2_15HIP_vector_typeIiLj3EES4_PhS5_Pb
    .private_segment_fixed_size: 0
    .sgpr_count:     49
    .sgpr_spill_count: 0
    .symbol:         _Z3spmPKfiPKhS2_15HIP_vector_typeIiLj3EES4_PhS5_Pb.kd
    .uniform_work_group_size: 1
    .uses_dynamic_stack: false
    .vgpr_count:     36
    .vgpr_spill_count: 0
    .wavefront_size: 32
    .workgroup_processor_mode: 1
amdhsa.target:   amdgcn-amd-amdhsa--gfx1100
amdhsa.version:
  - 1
  - 2
...

	.end_amdgpu_metadata
